;; amdgpu-corpus repo=ROCm/rocFFT kind=compiled arch=gfx1100 opt=O3
	.text
	.amdgcn_target "amdgcn-amd-amdhsa--gfx1100"
	.amdhsa_code_object_version 6
	.protected	fft_rtc_back_len60_factors_6_10_wgs_160_tpt_10_dp_ip_CI_sbcc ; -- Begin function fft_rtc_back_len60_factors_6_10_wgs_160_tpt_10_dp_ip_CI_sbcc
	.globl	fft_rtc_back_len60_factors_6_10_wgs_160_tpt_10_dp_ip_CI_sbcc
	.p2align	8
	.type	fft_rtc_back_len60_factors_6_10_wgs_160_tpt_10_dp_ip_CI_sbcc,@function
fft_rtc_back_len60_factors_6_10_wgs_160_tpt_10_dp_ip_CI_sbcc: ; @fft_rtc_back_len60_factors_6_10_wgs_160_tpt_10_dp_ip_CI_sbcc
; %bb.0:
	s_load_b128 s[8:11], s[0:1], 0x18
	s_mov_b32 s14, s15
	s_mov_b32 s15, 0
	s_mov_b64 s[22:23], 0
	s_waitcnt lgkmcnt(0)
	s_load_b64 s[12:13], s[8:9], 0x8
	s_waitcnt lgkmcnt(0)
	s_add_u32 s2, s12, -1
	s_addc_u32 s3, s13, -1
	s_delay_alu instid0(SALU_CYCLE_1) | instskip(NEXT) | instid1(SALU_CYCLE_1)
	s_lshr_b64 s[2:3], s[2:3], 4
	s_add_u32 s16, s2, 1
	s_addc_u32 s17, s3, 0
	s_delay_alu instid0(SALU_CYCLE_1) | instskip(NEXT) | instid1(VALU_DEP_1)
	v_cmp_lt_u64_e64 s2, s[14:15], s[16:17]
	s_and_b32 vcc_lo, exec_lo, s2
	s_cbranch_vccnz .LBB0_2
; %bb.1:
	v_cvt_f32_u32_e32 v1, s16
	s_sub_i32 s3, 0, s16
	s_mov_b32 s23, s15
	s_delay_alu instid0(VALU_DEP_1) | instskip(SKIP_2) | instid1(VALU_DEP_1)
	v_rcp_iflag_f32_e32 v1, v1
	s_waitcnt_depctr 0xfff
	v_mul_f32_e32 v1, 0x4f7ffffe, v1
	v_cvt_u32_f32_e32 v1, v1
	s_delay_alu instid0(VALU_DEP_1) | instskip(NEXT) | instid1(VALU_DEP_1)
	v_readfirstlane_b32 s2, v1
	s_mul_i32 s3, s3, s2
	s_delay_alu instid0(SALU_CYCLE_1) | instskip(NEXT) | instid1(SALU_CYCLE_1)
	s_mul_hi_u32 s3, s2, s3
	s_add_i32 s2, s2, s3
	s_delay_alu instid0(SALU_CYCLE_1) | instskip(NEXT) | instid1(SALU_CYCLE_1)
	s_mul_hi_u32 s2, s14, s2
	s_mul_i32 s3, s2, s16
	s_add_i32 s4, s2, 1
	s_sub_i32 s3, s14, s3
	s_delay_alu instid0(SALU_CYCLE_1)
	s_sub_i32 s5, s3, s16
	s_cmp_ge_u32 s3, s16
	s_cselect_b32 s2, s4, s2
	s_cselect_b32 s3, s5, s3
	s_add_i32 s4, s2, 1
	s_cmp_ge_u32 s3, s16
	s_cselect_b32 s22, s4, s2
.LBB0_2:
	s_load_b128 s[4:7], s[10:11], 0x0
	s_load_b64 s[20:21], s[0:1], 0x10
	s_mul_i32 s2, s22, s17
	s_mul_hi_u32 s3, s22, s16
	s_mul_i32 s18, s22, s16
	s_add_i32 s3, s3, s2
	s_sub_u32 s18, s14, s18
	s_subb_u32 s19, 0, s3
	s_clause 0x1
	s_load_b64 s[2:3], s[0:1], 0x58
	s_load_b64 s[0:1], s[0:1], 0x0
	v_alignbit_b32 v1, s19, s18, 28
	s_lshl_b64 s[18:19], s[18:19], 4
	s_waitcnt lgkmcnt(0)
	s_delay_alu instid0(VALU_DEP_1) | instskip(SKIP_3) | instid1(VALU_DEP_1)
	v_mul_lo_u32 v1, s6, v1
	s_mul_hi_u32 s24, s6, s18
	v_cmp_lt_u64_e64 s25, s[20:21], 3
	s_mul_i32 s26, s7, s18
	s_and_b32 vcc_lo, exec_lo, s25
	s_delay_alu instid0(VALU_DEP_2)
	v_add_nc_u32_e32 v2, s24, v1
	s_mul_i32 s24, s6, s18
	s_delay_alu instid0(VALU_DEP_1) | instid1(SALU_CYCLE_1)
	v_dual_mov_b32 v1, s24 :: v_dual_add_nc_u32 v2, s26, v2
	s_cbranch_vccnz .LBB0_11
; %bb.3:
	s_add_u32 s24, s10, 16
	s_addc_u32 s25, s11, 0
	s_add_u32 s8, s8, 16
	s_addc_u32 s9, s9, 0
	s_mov_b64 s[26:27], 2
	s_mov_b32 s28, 0
	s_branch .LBB0_5
.LBB0_4:                                ;   in Loop: Header=BB0_5 Depth=1
	s_load_b64 s[36:37], s[24:25], 0x0
	s_mul_i32 s17, s30, s17
	s_mul_hi_u32 s29, s30, s16
	s_mul_i32 s33, s31, s16
	s_mul_i32 s31, s34, s31
	s_mul_hi_u32 s38, s34, s30
	s_mul_i32 s39, s35, s30
	s_add_i32 s17, s29, s17
	s_add_i32 s29, s38, s31
	s_mul_i32 s40, s34, s30
	s_add_i32 s17, s17, s33
	s_add_i32 s29, s29, s39
	s_sub_u32 s22, s22, s40
	s_subb_u32 s23, s23, s29
	s_mul_i32 s16, s30, s16
	s_waitcnt lgkmcnt(0)
	s_mul_i32 s23, s36, s23
	s_mul_hi_u32 s29, s36, s22
	s_mul_i32 s31, s37, s22
	s_add_i32 s23, s29, s23
	s_mul_i32 s22, s36, s22
	s_add_i32 s23, s23, s31
	s_add_u32 s26, s26, 1
	s_addc_u32 s27, s27, 0
	v_add_co_u32 v1, vcc_lo, s22, v1
	v_cmp_ge_u64_e64 s29, s[26:27], s[20:21]
	v_add_co_ci_u32_e32 v2, vcc_lo, s23, v2, vcc_lo
	s_add_u32 s24, s24, 8
	s_addc_u32 s25, s25, 0
	s_add_u32 s8, s8, 8
	s_addc_u32 s9, s9, 0
	s_and_b32 vcc_lo, exec_lo, s29
	s_mov_b64 s[22:23], s[34:35]
	s_cbranch_vccnz .LBB0_9
.LBB0_5:                                ; =>This Inner Loop Header: Depth=1
	s_load_b64 s[30:31], s[8:9], 0x0
	s_waitcnt lgkmcnt(0)
	s_or_b64 s[34:35], s[22:23], s[30:31]
	s_delay_alu instid0(SALU_CYCLE_1) | instskip(NEXT) | instid1(SALU_CYCLE_1)
	s_mov_b32 s29, s35
                                        ; implicit-def: $sgpr34_sgpr35
	s_cmp_lg_u64 s[28:29], 0
	s_mov_b32 s29, -1
	s_cbranch_scc0 .LBB0_7
; %bb.6:                                ;   in Loop: Header=BB0_5 Depth=1
	v_cvt_f32_u32_e32 v3, s30
	v_cvt_f32_u32_e32 v4, s31
	s_sub_u32 s34, 0, s30
	s_subb_u32 s35, 0, s31
	s_delay_alu instid0(VALU_DEP_1) | instskip(NEXT) | instid1(VALU_DEP_1)
	v_fmac_f32_e32 v3, 0x4f800000, v4
	v_rcp_f32_e32 v3, v3
	s_waitcnt_depctr 0xfff
	v_mul_f32_e32 v3, 0x5f7ffffc, v3
	s_delay_alu instid0(VALU_DEP_1) | instskip(NEXT) | instid1(VALU_DEP_1)
	v_mul_f32_e32 v4, 0x2f800000, v3
	v_trunc_f32_e32 v4, v4
	s_delay_alu instid0(VALU_DEP_1) | instskip(SKIP_1) | instid1(VALU_DEP_2)
	v_fmac_f32_e32 v3, 0xcf800000, v4
	v_cvt_u32_f32_e32 v4, v4
	v_cvt_u32_f32_e32 v3, v3
	s_delay_alu instid0(VALU_DEP_2) | instskip(NEXT) | instid1(VALU_DEP_2)
	v_readfirstlane_b32 s29, v4
	v_readfirstlane_b32 s33, v3
	s_delay_alu instid0(VALU_DEP_2) | instskip(NEXT) | instid1(VALU_DEP_1)
	s_mul_i32 s36, s34, s29
	s_mul_hi_u32 s38, s34, s33
	s_mul_i32 s37, s35, s33
	s_add_i32 s36, s38, s36
	s_mul_i32 s39, s34, s33
	s_add_i32 s36, s36, s37
	s_mul_hi_u32 s38, s33, s39
	s_mul_hi_u32 s40, s29, s39
	s_mul_i32 s37, s29, s39
	s_mul_hi_u32 s39, s33, s36
	s_mul_i32 s33, s33, s36
	s_mul_hi_u32 s41, s29, s36
	s_add_u32 s33, s38, s33
	s_addc_u32 s38, 0, s39
	s_add_u32 s33, s33, s37
	s_mul_i32 s36, s29, s36
	s_addc_u32 s33, s38, s40
	s_addc_u32 s37, s41, 0
	s_add_u32 s33, s33, s36
	s_addc_u32 s36, 0, s37
	v_add_co_u32 v3, s33, v3, s33
	s_delay_alu instid0(VALU_DEP_1) | instskip(SKIP_1) | instid1(VALU_DEP_1)
	s_cmp_lg_u32 s33, 0
	s_addc_u32 s29, s29, s36
	v_readfirstlane_b32 s33, v3
	s_mul_i32 s36, s34, s29
	s_delay_alu instid0(VALU_DEP_1)
	s_mul_hi_u32 s37, s34, s33
	s_mul_i32 s35, s35, s33
	s_add_i32 s36, s37, s36
	s_mul_i32 s34, s34, s33
	s_add_i32 s36, s36, s35
	s_mul_hi_u32 s37, s29, s34
	s_mul_i32 s38, s29, s34
	s_mul_hi_u32 s34, s33, s34
	s_mul_hi_u32 s39, s33, s36
	s_mul_i32 s33, s33, s36
	s_mul_hi_u32 s35, s29, s36
	s_add_u32 s33, s34, s33
	s_addc_u32 s34, 0, s39
	s_add_u32 s33, s33, s38
	s_mul_i32 s36, s29, s36
	s_addc_u32 s33, s34, s37
	s_addc_u32 s34, s35, 0
	s_add_u32 s33, s33, s36
	s_addc_u32 s34, 0, s34
	v_add_co_u32 v3, s33, v3, s33
	s_delay_alu instid0(VALU_DEP_1) | instskip(SKIP_1) | instid1(VALU_DEP_1)
	s_cmp_lg_u32 s33, 0
	s_addc_u32 s29, s29, s34
	v_readfirstlane_b32 s33, v3
	s_mul_i32 s35, s22, s29
	s_mul_hi_u32 s34, s22, s29
	s_mul_hi_u32 s36, s23, s29
	s_mul_i32 s29, s23, s29
	s_mul_hi_u32 s37, s22, s33
	s_mul_hi_u32 s38, s23, s33
	s_mul_i32 s33, s23, s33
	s_add_u32 s35, s37, s35
	s_addc_u32 s34, 0, s34
	s_add_u32 s33, s35, s33
	s_addc_u32 s33, s34, s38
	s_addc_u32 s34, s36, 0
	s_add_u32 s33, s33, s29
	s_addc_u32 s34, 0, s34
	s_mul_hi_u32 s29, s30, s33
	s_mul_i32 s36, s30, s34
	s_mul_i32 s37, s30, s33
	s_add_i32 s29, s29, s36
	v_sub_co_u32 v3, s36, s22, s37
	s_mul_i32 s35, s31, s33
	s_delay_alu instid0(SALU_CYCLE_1) | instskip(NEXT) | instid1(VALU_DEP_1)
	s_add_i32 s29, s29, s35
	v_sub_co_u32 v4, s37, v3, s30
	s_sub_i32 s35, s23, s29
	s_cmp_lg_u32 s36, 0
	s_subb_u32 s35, s35, s31
	s_cmp_lg_u32 s37, 0
	v_readfirstlane_b32 s37, v4
	s_subb_u32 s35, s35, 0
	s_delay_alu instid0(SALU_CYCLE_1) | instskip(SKIP_1) | instid1(VALU_DEP_1)
	s_cmp_ge_u32 s35, s31
	s_cselect_b32 s38, -1, 0
	s_cmp_ge_u32 s37, s30
	s_cselect_b32 s37, -1, 0
	s_cmp_eq_u32 s35, s31
	s_cselect_b32 s35, s37, s38
	s_add_u32 s37, s33, 1
	s_addc_u32 s38, s34, 0
	s_add_u32 s39, s33, 2
	s_addc_u32 s40, s34, 0
	s_cmp_lg_u32 s35, 0
	s_cselect_b32 s37, s39, s37
	s_cselect_b32 s35, s40, s38
	s_cmp_lg_u32 s36, 0
	v_readfirstlane_b32 s36, v3
	s_subb_u32 s29, s23, s29
	s_delay_alu instid0(SALU_CYCLE_1) | instskip(SKIP_1) | instid1(VALU_DEP_1)
	s_cmp_ge_u32 s29, s31
	s_cselect_b32 s38, -1, 0
	s_cmp_ge_u32 s36, s30
	s_cselect_b32 s36, -1, 0
	s_cmp_eq_u32 s29, s31
	s_cselect_b32 s29, s36, s38
	s_delay_alu instid0(SALU_CYCLE_1)
	s_cmp_lg_u32 s29, 0
	s_mov_b32 s29, 0
	s_cselect_b32 s35, s35, s34
	s_cselect_b32 s34, s37, s33
.LBB0_7:                                ;   in Loop: Header=BB0_5 Depth=1
	s_and_not1_b32 vcc_lo, exec_lo, s29
	s_cbranch_vccnz .LBB0_4
; %bb.8:                                ;   in Loop: Header=BB0_5 Depth=1
	v_cvt_f32_u32_e32 v3, s30
	s_sub_i32 s33, 0, s30
	s_delay_alu instid0(VALU_DEP_1) | instskip(SKIP_2) | instid1(VALU_DEP_1)
	v_rcp_iflag_f32_e32 v3, v3
	s_waitcnt_depctr 0xfff
	v_mul_f32_e32 v3, 0x4f7ffffe, v3
	v_cvt_u32_f32_e32 v3, v3
	s_delay_alu instid0(VALU_DEP_1) | instskip(NEXT) | instid1(VALU_DEP_1)
	v_readfirstlane_b32 s29, v3
	s_mul_i32 s33, s33, s29
	s_delay_alu instid0(SALU_CYCLE_1) | instskip(NEXT) | instid1(SALU_CYCLE_1)
	s_mul_hi_u32 s33, s29, s33
	s_add_i32 s29, s29, s33
	s_delay_alu instid0(SALU_CYCLE_1) | instskip(NEXT) | instid1(SALU_CYCLE_1)
	s_mul_hi_u32 s29, s22, s29
	s_mul_i32 s33, s29, s30
	s_add_i32 s34, s29, 1
	s_sub_i32 s33, s22, s33
	s_delay_alu instid0(SALU_CYCLE_1)
	s_sub_i32 s35, s33, s30
	s_cmp_ge_u32 s33, s30
	s_cselect_b32 s29, s34, s29
	s_cselect_b32 s33, s35, s33
	s_add_i32 s34, s29, 1
	s_cmp_ge_u32 s33, s30
	s_mov_b32 s35, s28
	s_cselect_b32 s34, s34, s29
	s_branch .LBB0_4
.LBB0_9:
	v_cmp_lt_u64_e64 s8, s[14:15], s[16:17]
	s_mov_b64 s[22:23], 0
	s_delay_alu instid0(VALU_DEP_1)
	s_and_b32 vcc_lo, exec_lo, s8
	s_cbranch_vccnz .LBB0_11
; %bb.10:
	v_cvt_f32_u32_e32 v3, s16
	s_sub_i32 s9, 0, s16
	s_delay_alu instid0(VALU_DEP_1) | instskip(SKIP_2) | instid1(VALU_DEP_1)
	v_rcp_iflag_f32_e32 v3, v3
	s_waitcnt_depctr 0xfff
	v_mul_f32_e32 v3, 0x4f7ffffe, v3
	v_cvt_u32_f32_e32 v3, v3
	s_delay_alu instid0(VALU_DEP_1) | instskip(NEXT) | instid1(VALU_DEP_1)
	v_readfirstlane_b32 s8, v3
	s_mul_i32 s9, s9, s8
	s_delay_alu instid0(SALU_CYCLE_1) | instskip(NEXT) | instid1(SALU_CYCLE_1)
	s_mul_hi_u32 s9, s8, s9
	s_add_i32 s8, s8, s9
	s_delay_alu instid0(SALU_CYCLE_1) | instskip(NEXT) | instid1(SALU_CYCLE_1)
	s_mul_hi_u32 s8, s14, s8
	s_mul_i32 s9, s8, s16
	s_delay_alu instid0(SALU_CYCLE_1)
	s_sub_i32 s9, s14, s9
	s_add_i32 s14, s8, 1
	s_sub_i32 s15, s9, s16
	s_cmp_ge_u32 s9, s16
	s_cselect_b32 s8, s14, s8
	s_cselect_b32 s9, s15, s9
	s_add_i32 s14, s8, 1
	s_cmp_ge_u32 s9, s16
	s_cselect_b32 s22, s14, s8
.LBB0_11:
	s_lshl_b64 s[8:9], s[20:21], 3
	v_and_b32_e32 v48, 15, v0
	s_add_u32 s8, s10, s8
	s_addc_u32 s9, s11, s9
	v_lshrrev_b32_e32 v46, 4, v0
	s_load_b64 s[8:9], s[8:9], 0x0
	v_mov_b32_e32 v4, s19
	v_or_b32_e32 v3, s18, v48
	v_mul_u32_u24_e32 v49, 0x3c0, v48
	v_add_nc_u32_e32 v47, 10, v46
	v_lshlrev_b32_e32 v50, 4, v46
	v_add_nc_u32_e32 v45, 20, v46
	v_add_nc_u32_e32 v42, 30, v46
	;; [unrolled: 1-line block ×4, first 2 shown]
	s_waitcnt lgkmcnt(0)
	s_mul_i32 s9, s9, s22
	s_mul_hi_u32 s10, s8, s22
	s_mul_i32 s8, s8, s22
	s_add_i32 s10, s10, s9
	v_add_co_u32 v1, vcc_lo, s8, v1
	v_add_co_ci_u32_e32 v2, vcc_lo, s10, v2, vcc_lo
	s_add_u32 s8, s18, 16
	s_addc_u32 s9, s19, 0
	v_cmp_gt_u64_e32 vcc_lo, s[12:13], v[3:4]
	v_cmp_le_u64_e64 s8, s[8:9], s[12:13]
	v_lshlrev_b64 v[40:41], 4, v[1:2]
	s_delay_alu instid0(VALU_DEP_2) | instskip(NEXT) | instid1(SALU_CYCLE_1)
	s_or_b32 s16, s8, vcc_lo
	s_and_saveexec_b32 s8, s16
	s_cbranch_execz .LBB0_13
; %bb.12:
	v_mad_u64_u32 v[1:2], null, s6, v48, 0
	v_mad_u64_u32 v[3:4], null, s4, v46, 0
	;; [unrolled: 1-line block ×3, first 2 shown]
	v_add_co_u32 v14, vcc_lo, s2, v40
	v_add_co_ci_u32_e32 v15, vcc_lo, s3, v41, vcc_lo
	s_delay_alu instid0(VALU_DEP_4) | instskip(SKIP_4) | instid1(VALU_DEP_3)
	v_mad_u64_u32 v[7:8], null, s7, v48, v[2:3]
	v_mad_u64_u32 v[8:9], null, s4, v45, 0
	v_mov_b32_e32 v2, v6
	v_mad_u64_u32 v[10:11], null, s5, v46, v[4:5]
	v_add3_u32 v25, 0, v49, v50
	v_mad_u64_u32 v[11:12], null, s5, v47, v[2:3]
	v_mad_u64_u32 v[12:13], null, s4, v42, 0
	v_dual_mov_b32 v2, v7 :: v_dual_mov_b32 v7, v9
	v_mov_b32_e32 v4, v10
	s_delay_alu instid0(VALU_DEP_4) | instskip(NEXT) | instid1(VALU_DEP_3)
	v_mov_b32_e32 v6, v11
	v_lshlrev_b64 v[1:2], 4, v[1:2]
	s_delay_alu instid0(VALU_DEP_4) | instskip(SKIP_1) | instid1(VALU_DEP_3)
	v_mad_u64_u32 v[9:10], null, s5, v45, v[7:8]
	v_mad_u64_u32 v[10:11], null, s4, v44, 0
	v_add_co_u32 v20, vcc_lo, v14, v1
	v_mov_b32_e32 v1, v13
	v_add_co_ci_u32_e32 v22, vcc_lo, v15, v2, vcc_lo
	s_delay_alu instid0(VALU_DEP_4) | instskip(SKIP_1) | instid1(VALU_DEP_4)
	v_mov_b32_e32 v7, v11
	v_lshlrev_b64 v[3:4], 4, v[3:4]
	v_mad_u64_u32 v[13:14], null, s5, v42, v[1:2]
	v_mad_u64_u32 v[1:2], null, s4, v43, 0
	s_delay_alu instid0(VALU_DEP_4) | instskip(NEXT) | instid1(VALU_DEP_4)
	v_mad_u64_u32 v[14:15], null, s5, v44, v[7:8]
	v_add_co_u32 v3, vcc_lo, v20, v3
	v_lshlrev_b64 v[7:8], 4, v[8:9]
	v_add_co_ci_u32_e32 v4, vcc_lo, v22, v4, vcc_lo
	s_delay_alu instid0(VALU_DEP_3) | instskip(SKIP_3) | instid1(VALU_DEP_4)
	v_mad_u64_u32 v[15:16], null, s5, v43, v[2:3]
	v_mov_b32_e32 v11, v14
	v_lshlrev_b64 v[5:6], 4, v[5:6]
	v_lshlrev_b64 v[12:13], 4, v[12:13]
	v_mov_b32_e32 v2, v15
	s_delay_alu instid0(VALU_DEP_3) | instskip(NEXT) | instid1(VALU_DEP_4)
	v_add_co_u32 v5, vcc_lo, v20, v5
	v_add_co_ci_u32_e32 v6, vcc_lo, v22, v6, vcc_lo
	v_add_co_u32 v16, vcc_lo, v20, v7
	v_add_co_ci_u32_e32 v17, vcc_lo, v22, v8, vcc_lo
	v_lshlrev_b64 v[7:8], 4, v[10:11]
	v_add_co_u32 v14, vcc_lo, v20, v12
	v_lshlrev_b64 v[1:2], 4, v[1:2]
	v_add_co_ci_u32_e32 v15, vcc_lo, v22, v13, vcc_lo
	s_delay_alu instid0(VALU_DEP_4) | instskip(SKIP_1) | instid1(VALU_DEP_4)
	v_add_co_u32 v18, vcc_lo, v20, v7
	v_add_co_ci_u32_e32 v19, vcc_lo, v22, v8, vcc_lo
	v_add_co_u32 v21, vcc_lo, v20, v1
	v_add_co_ci_u32_e32 v22, vcc_lo, v22, v2, vcc_lo
	s_clause 0x5
	global_load_b128 v[1:4], v[3:4], off
	global_load_b128 v[5:8], v[5:6], off
	;; [unrolled: 1-line block ×6, first 2 shown]
	s_waitcnt vmcnt(5)
	ds_store_b128 v25, v[1:4]
	s_waitcnt vmcnt(4)
	ds_store_b128 v25, v[5:8] offset:160
	s_waitcnt vmcnt(3)
	ds_store_b128 v25, v[9:12] offset:320
	;; [unrolled: 2-line block ×5, first 2 shown]
.LBB0_13:
	s_or_b32 exec_lo, exec_lo, s8
	v_and_b32_e32 v1, 0xffff, v0
	s_waitcnt lgkmcnt(0)
	s_barrier
	buffer_gl0_inv
	s_mov_b32 s8, 0xe8584caa
	v_mul_u32_u24_e32 v1, 0xcccd, v1
	s_mov_b32 s9, 0xbfebb67a
	s_mov_b32 s11, 0x3febb67a
	;; [unrolled: 1-line block ×3, first 2 shown]
	s_delay_alu instid0(VALU_DEP_1) | instskip(NEXT) | instid1(VALU_DEP_1)
	v_lshrrev_b32_e32 v1, 19, v1
	v_and_b32_e32 v2, 15, v1
	v_mul_lo_u16 v1, v1, 10
	s_delay_alu instid0(VALU_DEP_2) | instskip(NEXT) | instid1(VALU_DEP_2)
	v_mul_lo_u16 v2, v2, 60
	v_sub_nc_u16 v54, v0, v1
	s_delay_alu instid0(VALU_DEP_2) | instskip(NEXT) | instid1(VALU_DEP_2)
	v_and_b32_e32 v0, 0xffff, v2
	v_and_b32_e32 v53, 0xffff, v54
	v_cmp_gt_u16_e32 vcc_lo, 6, v54
	s_delay_alu instid0(VALU_DEP_3) | instskip(NEXT) | instid1(VALU_DEP_3)
	v_lshlrev_b32_e32 v36, 4, v0
	v_lshlrev_b32_e32 v37, 4, v53
	s_delay_alu instid0(VALU_DEP_1)
	v_add3_u32 v51, 0, v37, v36
	v_add3_u32 v52, 0, v36, v37
	ds_load_b128 v[0:3], v51 offset:480
	ds_load_b128 v[4:7], v51 offset:800
	;; [unrolled: 1-line block ×3, first 2 shown]
	s_waitcnt lgkmcnt(1)
	v_add_f64 v[12:13], v[2:3], v[6:7]
	v_add_f64 v[20:21], v[0:1], v[4:5]
	v_add_f64 v[22:23], v[0:1], -v[4:5]
	v_add_f64 v[30:31], v[2:3], -v[6:7]
	s_waitcnt lgkmcnt(0)
	v_add_f64 v[0:1], v[8:9], v[0:1]
	v_add_f64 v[2:3], v[10:11], v[2:3]
	v_fma_f64 v[24:25], v[12:13], -0.5, v[10:11]
	ds_load_b128 v[12:15], v51 offset:320
	ds_load_b128 v[16:19], v51 offset:640
	v_fma_f64 v[32:33], v[20:21], -0.5, v[8:9]
	v_add_f64 v[4:5], v[0:1], v[4:5]
	v_add_f64 v[6:7], v[2:3], v[6:7]
	s_waitcnt lgkmcnt(0)
	v_add_f64 v[26:27], v[12:13], v[16:17]
	v_add_f64 v[28:29], v[14:15], v[18:19]
	v_add_f64 v[38:39], v[14:15], -v[18:19]
	v_fma_f64 v[34:35], v[22:23], s[10:11], v[24:25]
	v_fma_f64 v[24:25], v[22:23], s[8:9], v[24:25]
	ds_load_b128 v[20:23], v52
	s_waitcnt lgkmcnt(0)
	s_barrier
	buffer_gl0_inv
	v_add_f64 v[36:37], v[20:21], v[12:13]
	v_add_f64 v[14:15], v[22:23], v[14:15]
	v_add_f64 v[12:13], v[12:13], -v[16:17]
	v_fma_f64 v[8:9], v[26:27], -0.5, v[20:21]
	v_fma_f64 v[10:11], v[28:29], -0.5, v[22:23]
	v_fma_f64 v[20:21], v[30:31], s[8:9], v[32:33]
	v_fma_f64 v[22:23], v[30:31], s[10:11], v[32:33]
	v_mul_f64 v[26:27], v[34:35], s[8:9]
	v_mul_f64 v[28:29], v[24:25], s[8:9]
	v_mul_f64 v[30:31], v[34:35], 0.5
	v_mul_f64 v[24:25], v[24:25], -0.5
	v_add_f64 v[16:17], v[36:37], v[16:17]
	v_add_f64 v[14:15], v[14:15], v[18:19]
	v_fma_f64 v[32:33], v[38:39], s[8:9], v[8:9]
	v_fma_f64 v[34:35], v[38:39], s[10:11], v[8:9]
	;; [unrolled: 1-line block ×4, first 2 shown]
	v_fma_f64 v[12:13], v[20:21], 0.5, v[26:27]
	v_fma_f64 v[26:27], v[22:23], -0.5, v[28:29]
	v_fma_f64 v[28:29], v[20:21], s[10:11], v[30:31]
	v_fma_f64 v[22:23], v[22:23], s[10:11], v[24:25]
	v_mad_u32_u24 v24, 0x50, v53, v51
                                        ; implicit-def: $vgpr30_vgpr31
	v_add_f64 v[0:1], v[16:17], v[4:5]
	v_add_f64 v[2:3], v[14:15], v[6:7]
	v_add_f64 v[16:17], v[16:17], -v[4:5]
	v_add_f64 v[18:19], v[14:15], -v[6:7]
	v_add_f64 v[4:5], v[32:33], v[12:13]
	v_add_f64 v[8:9], v[34:35], v[26:27]
	;; [unrolled: 1-line block ×4, first 2 shown]
	v_add_f64 v[12:13], v[32:33], -v[12:13]
	v_add_f64 v[20:21], v[34:35], -v[26:27]
	;; [unrolled: 1-line block ×4, first 2 shown]
                                        ; implicit-def: $vgpr38_vgpr39
                                        ; implicit-def: $vgpr34_vgpr35
                                        ; implicit-def: $vgpr26_vgpr27
	ds_store_b128 v24, v[0:3]
	ds_store_b128 v24, v[4:7] offset:16
	ds_store_b128 v24, v[8:11] offset:32
	;; [unrolled: 1-line block ×5, first 2 shown]
	s_waitcnt lgkmcnt(0)
	s_barrier
	buffer_gl0_inv
	s_and_saveexec_b32 s8, vcc_lo
	s_cbranch_execz .LBB0_15
; %bb.14:
	ds_load_b128 v[0:3], v52
	ds_load_b128 v[4:7], v51 offset:96
	ds_load_b128 v[8:11], v51 offset:192
	;; [unrolled: 1-line block ×9, first 2 shown]
.LBB0_15:
	s_or_b32 exec_lo, exec_lo, s8
	s_waitcnt lgkmcnt(0)
	s_barrier
	buffer_gl0_inv
	s_and_saveexec_b32 s17, vcc_lo
	s_cbranch_execz .LBB0_17
; %bb.16:
	v_add_nc_u32_e32 v54, -6, v53
	s_mov_b32 s8, 0x134454ff
	s_mov_b32 s9, 0xbfee6f0e
	s_mov_b32 s12, 0x4755a5e
	s_mov_b32 s13, 0xbfe2cf23
	v_dual_cndmask_b32 v53, v54, v53 :: v_dual_mov_b32 v54, 0
	s_mov_b32 s11, 0x3fe2cf23
	s_mov_b32 s10, s12
	;; [unrolled: 1-line block ×3, first 2 shown]
	s_delay_alu instid0(VALU_DEP_1)
	v_mul_i32_i24_e32 v53, 9, v53
	s_mov_b32 s15, 0x3fd3c6ef
	s_mov_b32 s18, 0x9b97f4a8
	;; [unrolled: 1-line block ×4, first 2 shown]
	v_lshlrev_b64 v[53:54], 4, v[53:54]
	s_mov_b32 s23, 0x3fe9e377
	s_mov_b32 s20, s14
	;; [unrolled: 1-line block ×3, first 2 shown]
	s_delay_alu instid0(VALU_DEP_1) | instskip(NEXT) | instid1(VALU_DEP_2)
	v_add_co_u32 v85, vcc_lo, s0, v53
	v_add_co_ci_u32_e32 v86, vcc_lo, s1, v54, vcc_lo
	s_mov_b32 s1, 0x3fee6f0e
	s_mov_b32 s0, s8
	s_clause 0x8
	global_load_b128 v[53:56], v[85:86], off offset:32
	global_load_b128 v[57:60], v[85:86], off offset:64
	;; [unrolled: 1-line block ×4, first 2 shown]
	global_load_b128 v[69:72], v[85:86], off
	global_load_b128 v[73:76], v[85:86], off offset:16
	global_load_b128 v[77:80], v[85:86], off offset:48
	;; [unrolled: 1-line block ×4, first 2 shown]
	s_waitcnt vmcnt(8)
	v_mul_f64 v[89:90], v[16:17], v[55:56]
	s_waitcnt vmcnt(7)
	v_mul_f64 v[91:92], v[20:21], v[59:60]
	;; [unrolled: 2-line block ×4, first 2 shown]
	v_mul_f64 v[55:56], v[18:19], v[55:56]
	v_mul_f64 v[59:60], v[22:23], v[59:60]
	;; [unrolled: 1-line block ×4, first 2 shown]
	s_waitcnt vmcnt(4)
	v_mul_f64 v[97:98], v[4:5], v[71:72]
	v_mul_f64 v[71:72], v[6:7], v[71:72]
	v_fma_f64 v[18:19], v[18:19], v[53:54], -v[89:90]
	v_fma_f64 v[22:23], v[22:23], v[57:58], -v[91:92]
	;; [unrolled: 1-line block ×4, first 2 shown]
	s_waitcnt vmcnt(3)
	v_mul_f64 v[89:90], v[8:9], v[75:76]
	s_waitcnt vmcnt(2)
	v_mul_f64 v[91:92], v[12:13], v[79:80]
	;; [unrolled: 2-line block ×4, first 2 shown]
	v_mul_f64 v[75:76], v[10:11], v[75:76]
	v_mul_f64 v[79:80], v[14:15], v[79:80]
	v_mul_f64 v[87:88], v[26:27], v[87:88]
	v_mul_f64 v[83:84], v[30:31], v[83:84]
	v_fma_f64 v[16:17], v[16:17], v[53:54], v[55:56]
	v_fma_f64 v[20:21], v[20:21], v[57:58], v[59:60]
	;; [unrolled: 1-line block ×4, first 2 shown]
	v_fma_f64 v[6:7], v[6:7], v[69:70], -v[97:98]
	v_fma_f64 v[4:5], v[4:5], v[69:70], v[71:72]
	v_add_f64 v[53:54], v[22:23], v[34:35]
	v_add_f64 v[55:56], v[18:19], v[38:39]
	v_fma_f64 v[10:11], v[10:11], v[73:74], -v[89:90]
	v_fma_f64 v[14:15], v[14:15], v[77:78], -v[91:92]
	;; [unrolled: 1-line block ×4, first 2 shown]
	v_fma_f64 v[8:9], v[8:9], v[73:74], v[75:76]
	v_fma_f64 v[12:13], v[12:13], v[77:78], v[79:80]
	;; [unrolled: 1-line block ×4, first 2 shown]
	v_add_f64 v[73:74], v[22:23], -v[34:35]
	v_add_f64 v[75:76], v[18:19], -v[38:39]
	v_add_f64 v[57:58], v[16:17], v[36:37]
	v_add_f64 v[59:60], v[20:21], v[32:33]
	v_add_f64 v[61:62], v[20:21], -v[32:33]
	v_add_f64 v[63:64], v[16:17], -v[36:37]
	;; [unrolled: 1-line block ×10, first 2 shown]
	v_fma_f64 v[53:54], v[53:54], -0.5, v[6:7]
	v_fma_f64 v[55:56], v[55:56], -0.5, v[6:7]
	v_add_f64 v[97:98], v[2:3], v[10:11]
	v_add_f64 v[6:7], v[6:7], v[18:19]
	;; [unrolled: 1-line block ×5, first 2 shown]
	v_add_f64 v[101:102], v[10:11], -v[30:31]
	v_add_f64 v[69:70], v[12:13], v[24:25]
	v_add_f64 v[71:72], v[8:9], v[28:29]
	v_add_f64 v[99:100], v[12:13], -v[24:25]
	v_add_f64 v[103:104], v[14:15], -v[26:27]
	v_fma_f64 v[57:58], v[57:58], -0.5, v[4:5]
	v_fma_f64 v[59:60], v[59:60], -0.5, v[4:5]
	v_add_f64 v[4:5], v[4:5], v[16:17]
	v_add_f64 v[16:17], v[8:9], -v[28:29]
	v_add_f64 v[105:106], v[28:29], -v[24:25]
	;; [unrolled: 1-line block ×3, first 2 shown]
	v_add_f64 v[89:90], v[89:90], v[91:92]
	v_add_f64 v[91:92], v[93:94], v[95:96]
	v_fma_f64 v[85:86], v[63:64], s[8:9], v[53:54]
	v_fma_f64 v[87:88], v[61:62], s[0:1], v[55:56]
	;; [unrolled: 1-line block ×4, first 2 shown]
	v_add_f64 v[6:7], v[6:7], v[22:23]
	v_fma_f64 v[65:66], v[65:66], -0.5, v[2:3]
	v_fma_f64 v[2:3], v[67:68], -0.5, v[2:3]
	;; [unrolled: 1-line block ×4, first 2 shown]
	v_add_f64 v[69:70], v[77:78], v[79:80]
	v_add_f64 v[71:72], v[81:82], v[83:84]
	v_fma_f64 v[79:80], v[73:74], s[8:9], v[57:58]
	v_fma_f64 v[77:78], v[75:76], s[0:1], v[59:60]
	v_fma_f64 v[57:58], v[73:74], s[0:1], v[57:58]
	v_fma_f64 v[59:60], v[75:76], s[8:9], v[59:60]
	v_add_f64 v[4:5], v[4:5], v[20:21]
	v_fma_f64 v[81:82], v[61:62], s[12:13], v[85:86]
	v_fma_f64 v[83:84], v[63:64], s[12:13], v[87:88]
	;; [unrolled: 1-line block ×4, first 2 shown]
	v_add_f64 v[61:62], v[10:11], -v[14:15]
	v_add_f64 v[10:11], v[14:15], -v[10:11]
	;; [unrolled: 1-line block ×4, first 2 shown]
	v_add_f64 v[14:15], v[97:98], v[14:15]
	v_add_f64 v[12:13], v[18:19], v[12:13]
	v_add_f64 v[63:64], v[30:31], -v[26:27]
	v_fma_f64 v[18:19], v[16:17], s[8:9], v[65:66]
	v_fma_f64 v[20:21], v[99:100], s[0:1], v[2:3]
	;; [unrolled: 1-line block ×9, first 2 shown]
	v_add_f64 v[87:88], v[26:27], -v[30:31]
	v_fma_f64 v[93:94], v[103:104], s[8:9], v[0:1]
	v_fma_f64 v[77:78], v[73:74], s[10:11], v[77:78]
	;; [unrolled: 1-line block ×3, first 2 shown]
	v_add_f64 v[6:7], v[6:7], v[34:35]
	v_add_f64 v[4:5], v[4:5], v[32:33]
	v_fma_f64 v[75:76], v[69:70], s[14:15], v[81:82]
	v_fma_f64 v[81:82], v[71:72], s[14:15], v[83:84]
	v_fma_f64 v[53:54], v[69:70], s[14:15], v[53:54]
	v_fma_f64 v[55:56], v[71:72], s[14:15], v[55:56]
	v_add_f64 v[8:9], v[8:9], v[107:108]
	v_add_f64 v[14:15], v[14:15], v[26:27]
	;; [unrolled: 1-line block ×5, first 2 shown]
	v_fma_f64 v[18:19], v[99:100], s[12:13], v[18:19]
	v_fma_f64 v[20:21], v[16:17], s[12:13], v[20:21]
	;; [unrolled: 1-line block ×8, first 2 shown]
	v_add_f64 v[10:11], v[10:11], v[87:88]
	v_fma_f64 v[24:25], v[101:102], s[10:11], v[93:94]
	v_fma_f64 v[26:27], v[89:90], s[14:15], v[77:78]
	;; [unrolled: 1-line block ×4, first 2 shown]
	v_add_f64 v[6:7], v[6:7], v[38:39]
	v_add_f64 v[4:5], v[4:5], v[36:37]
	v_mul_f64 v[57:58], v[75:76], s[18:19]
	v_mul_f64 v[65:66], v[81:82], s[20:21]
	;; [unrolled: 1-line block ×8, first 2 shown]
	v_add_f64 v[14:15], v[14:15], v[30:31]
	v_add_f64 v[12:13], v[12:13], v[28:29]
	v_fma_f64 v[28:29], v[61:62], s[14:15], v[18:19]
	v_fma_f64 v[16:17], v[61:62], s[14:15], v[16:17]
	;; [unrolled: 1-line block ×16, first 2 shown]
	v_add_f64 v[2:3], v[14:15], -v[6:7]
	v_add_f64 v[0:1], v[12:13], -v[4:5]
	v_add_f64 v[6:7], v[14:15], v[6:7]
	v_add_f64 v[4:5], v[12:13], v[4:5]
	v_add_f64 v[10:11], v[28:29], -v[22:23]
	v_add_f64 v[22:23], v[28:29], v[22:23]
	v_add_f64 v[34:35], v[16:17], v[65:66]
	;; [unrolled: 1-line block ×3, first 2 shown]
	v_add_f64 v[18:19], v[30:31], -v[38:39]
	v_add_f64 v[30:31], v[30:31], v[38:39]
	v_add_f64 v[26:27], v[20:21], v[36:37]
	;; [unrolled: 1-line block ×4, first 2 shown]
	v_add_f64 v[14:15], v[20:21], -v[36:37]
	v_add_f64 v[20:21], v[61:62], v[67:68]
	v_add_f64 v[38:39], v[16:17], -v[65:66]
	v_add_f64 v[36:37], v[63:64], -v[53:54]
	;; [unrolled: 1-line block ×5, first 2 shown]
	ds_store_b128 v52, v[4:7]
	ds_store_b128 v51, v[32:35] offset:96
	ds_store_b128 v51, v[28:31] offset:192
	;; [unrolled: 1-line block ×9, first 2 shown]
.LBB0_17:
	s_or_b32 exec_lo, exec_lo, s17
	s_waitcnt lgkmcnt(0)
	s_barrier
	buffer_gl0_inv
	s_and_saveexec_b32 s0, s16
	s_cbranch_execz .LBB0_19
; %bb.18:
	v_mad_u64_u32 v[4:5], null, s6, v48, 0
	v_mad_u64_u32 v[6:7], null, s4, v46, 0
	v_add3_u32 v18, 0, v49, v50
	v_mad_u64_u32 v[8:9], null, s4, v47, 0
	v_mad_u64_u32 v[10:11], null, s4, v45, 0
	v_mov_b32_e32 v0, v5
	v_add_co_u32 v14, vcc_lo, s2, v40
	v_add_co_ci_u32_e32 v15, vcc_lo, s3, v41, vcc_lo
	s_delay_alu instid0(VALU_DEP_3)
	v_mad_u64_u32 v[1:2], null, s7, v48, v[0:1]
	v_mov_b32_e32 v0, v7
	v_mad_u64_u32 v[16:17], null, s4, v42, 0
	v_mad_u64_u32 v[20:21], null, s4, v44, 0
	;; [unrolled: 1-line block ×3, first 2 shown]
	v_mov_b32_e32 v5, v1
	v_mad_u64_u32 v[12:13], null, s5, v46, v[0:1]
	ds_load_b128 v[0:3], v18
	v_lshlrev_b64 v[4:5], 4, v[4:5]
	v_mov_b32_e32 v7, v12
	v_mad_u64_u32 v[12:13], null, s5, v47, v[9:10]
	s_delay_alu instid0(VALU_DEP_3) | instskip(NEXT) | instid1(VALU_DEP_3)
	v_add_co_u32 v31, vcc_lo, v14, v4
	v_lshlrev_b64 v[6:7], 4, v[6:7]
	v_add_co_ci_u32_e32 v32, vcc_lo, v15, v5, vcc_lo
	s_delay_alu instid0(VALU_DEP_4) | instskip(NEXT) | instid1(VALU_DEP_3)
	v_mad_u64_u32 v[13:14], null, s5, v45, v[11:12]
	v_add_co_u32 v14, vcc_lo, v31, v6
	s_delay_alu instid0(VALU_DEP_3)
	v_add_co_ci_u32_e32 v15, vcc_lo, v32, v7, vcc_lo
	ds_load_b128 v[4:7], v18 offset:160
	v_mov_b32_e32 v9, v12
	v_mov_b32_e32 v11, v13
	s_waitcnt lgkmcnt(1)
	global_store_b128 v[14:15], v[0:3], off
	v_mov_b32_e32 v2, v17
	v_lshlrev_b64 v[0:1], 4, v[8:9]
	v_lshlrev_b64 v[8:9], 4, v[10:11]
	s_delay_alu instid0(VALU_DEP_3) | instskip(NEXT) | instid1(VALU_DEP_3)
	v_mad_u64_u32 v[10:11], null, s5, v42, v[2:3]
	v_add_co_u32 v24, vcc_lo, v31, v0
	v_mov_b32_e32 v0, v21
	v_add_co_ci_u32_e32 v25, vcc_lo, v32, v1, vcc_lo
	s_delay_alu instid0(VALU_DEP_4) | instskip(SKIP_1) | instid1(VALU_DEP_4)
	v_mov_b32_e32 v17, v10
	v_add_co_u32 v26, vcc_lo, v31, v8
	v_mad_u64_u32 v[1:2], null, s5, v44, v[0:1]
	v_mov_b32_e32 v0, v23
	v_add_co_ci_u32_e32 v27, vcc_lo, v32, v9, vcc_lo
	s_delay_alu instid0(VALU_DEP_2)
	v_mad_u64_u32 v[28:29], null, s5, v43, v[0:1]
	v_mov_b32_e32 v21, v1
	ds_load_b128 v[0:3], v18 offset:320
	ds_load_b128 v[8:11], v18 offset:480
	v_lshlrev_b64 v[29:30], 4, v[16:17]
	ds_load_b128 v[12:15], v18 offset:640
	ds_load_b128 v[16:19], v18 offset:800
	v_lshlrev_b64 v[20:21], 4, v[20:21]
	v_mov_b32_e32 v23, v28
	v_add_co_u32 v28, vcc_lo, v31, v29
	v_add_co_ci_u32_e32 v29, vcc_lo, v32, v30, vcc_lo
	s_delay_alu instid0(VALU_DEP_3) | instskip(SKIP_2) | instid1(VALU_DEP_3)
	v_lshlrev_b64 v[22:23], 4, v[22:23]
	v_add_co_u32 v20, vcc_lo, v31, v20
	v_add_co_ci_u32_e32 v21, vcc_lo, v32, v21, vcc_lo
	v_add_co_u32 v22, vcc_lo, v31, v22
	s_delay_alu instid0(VALU_DEP_4)
	v_add_co_ci_u32_e32 v23, vcc_lo, v32, v23, vcc_lo
	s_waitcnt lgkmcnt(4)
	global_store_b128 v[24:25], v[4:7], off
	s_waitcnt lgkmcnt(3)
	global_store_b128 v[26:27], v[0:3], off
	;; [unrolled: 2-line block ×5, first 2 shown]
.LBB0_19:
	s_nop 0
	s_sendmsg sendmsg(MSG_DEALLOC_VGPRS)
	s_endpgm
	.section	.rodata,"a",@progbits
	.p2align	6, 0x0
	.amdhsa_kernel fft_rtc_back_len60_factors_6_10_wgs_160_tpt_10_dp_ip_CI_sbcc
		.amdhsa_group_segment_fixed_size 0
		.amdhsa_private_segment_fixed_size 0
		.amdhsa_kernarg_size 96
		.amdhsa_user_sgpr_count 15
		.amdhsa_user_sgpr_dispatch_ptr 0
		.amdhsa_user_sgpr_queue_ptr 0
		.amdhsa_user_sgpr_kernarg_segment_ptr 1
		.amdhsa_user_sgpr_dispatch_id 0
		.amdhsa_user_sgpr_private_segment_size 0
		.amdhsa_wavefront_size32 1
		.amdhsa_uses_dynamic_stack 0
		.amdhsa_enable_private_segment 0
		.amdhsa_system_sgpr_workgroup_id_x 1
		.amdhsa_system_sgpr_workgroup_id_y 0
		.amdhsa_system_sgpr_workgroup_id_z 0
		.amdhsa_system_sgpr_workgroup_info 0
		.amdhsa_system_vgpr_workitem_id 0
		.amdhsa_next_free_vgpr 109
		.amdhsa_next_free_sgpr 42
		.amdhsa_reserve_vcc 1
		.amdhsa_float_round_mode_32 0
		.amdhsa_float_round_mode_16_64 0
		.amdhsa_float_denorm_mode_32 3
		.amdhsa_float_denorm_mode_16_64 3
		.amdhsa_dx10_clamp 1
		.amdhsa_ieee_mode 1
		.amdhsa_fp16_overflow 0
		.amdhsa_workgroup_processor_mode 1
		.amdhsa_memory_ordered 1
		.amdhsa_forward_progress 0
		.amdhsa_shared_vgpr_count 0
		.amdhsa_exception_fp_ieee_invalid_op 0
		.amdhsa_exception_fp_denorm_src 0
		.amdhsa_exception_fp_ieee_div_zero 0
		.amdhsa_exception_fp_ieee_overflow 0
		.amdhsa_exception_fp_ieee_underflow 0
		.amdhsa_exception_fp_ieee_inexact 0
		.amdhsa_exception_int_div_zero 0
	.end_amdhsa_kernel
	.text
.Lfunc_end0:
	.size	fft_rtc_back_len60_factors_6_10_wgs_160_tpt_10_dp_ip_CI_sbcc, .Lfunc_end0-fft_rtc_back_len60_factors_6_10_wgs_160_tpt_10_dp_ip_CI_sbcc
                                        ; -- End function
	.section	.AMDGPU.csdata,"",@progbits
; Kernel info:
; codeLenInByte = 5100
; NumSgprs: 44
; NumVgprs: 109
; ScratchSize: 0
; MemoryBound: 0
; FloatMode: 240
; IeeeMode: 1
; LDSByteSize: 0 bytes/workgroup (compile time only)
; SGPRBlocks: 5
; VGPRBlocks: 13
; NumSGPRsForWavesPerEU: 44
; NumVGPRsForWavesPerEU: 109
; Occupancy: 12
; WaveLimiterHint : 1
; COMPUTE_PGM_RSRC2:SCRATCH_EN: 0
; COMPUTE_PGM_RSRC2:USER_SGPR: 15
; COMPUTE_PGM_RSRC2:TRAP_HANDLER: 0
; COMPUTE_PGM_RSRC2:TGID_X_EN: 1
; COMPUTE_PGM_RSRC2:TGID_Y_EN: 0
; COMPUTE_PGM_RSRC2:TGID_Z_EN: 0
; COMPUTE_PGM_RSRC2:TIDIG_COMP_CNT: 0
	.text
	.p2alignl 7, 3214868480
	.fill 96, 4, 3214868480
	.type	__hip_cuid_98aa25df0d95c1e8,@object ; @__hip_cuid_98aa25df0d95c1e8
	.section	.bss,"aw",@nobits
	.globl	__hip_cuid_98aa25df0d95c1e8
__hip_cuid_98aa25df0d95c1e8:
	.byte	0                               ; 0x0
	.size	__hip_cuid_98aa25df0d95c1e8, 1

	.ident	"AMD clang version 19.0.0git (https://github.com/RadeonOpenCompute/llvm-project roc-6.4.0 25133 c7fe45cf4b819c5991fe208aaa96edf142730f1d)"
	.section	".note.GNU-stack","",@progbits
	.addrsig
	.addrsig_sym __hip_cuid_98aa25df0d95c1e8
	.amdgpu_metadata
---
amdhsa.kernels:
  - .args:
      - .actual_access:  read_only
        .address_space:  global
        .offset:         0
        .size:           8
        .value_kind:     global_buffer
      - .address_space:  global
        .offset:         8
        .size:           8
        .value_kind:     global_buffer
      - .offset:         16
        .size:           8
        .value_kind:     by_value
      - .actual_access:  read_only
        .address_space:  global
        .offset:         24
        .size:           8
        .value_kind:     global_buffer
      - .actual_access:  read_only
        .address_space:  global
        .offset:         32
        .size:           8
        .value_kind:     global_buffer
      - .offset:         40
        .size:           8
        .value_kind:     by_value
      - .actual_access:  read_only
        .address_space:  global
        .offset:         48
        .size:           8
        .value_kind:     global_buffer
      - .actual_access:  read_only
        .address_space:  global
        .offset:         56
        .size:           8
        .value_kind:     global_buffer
      - .offset:         64
        .size:           4
        .value_kind:     by_value
      - .actual_access:  read_only
        .address_space:  global
        .offset:         72
        .size:           8
        .value_kind:     global_buffer
      - .actual_access:  read_only
        .address_space:  global
        .offset:         80
        .size:           8
        .value_kind:     global_buffer
      - .address_space:  global
        .offset:         88
        .size:           8
        .value_kind:     global_buffer
    .group_segment_fixed_size: 0
    .kernarg_segment_align: 8
    .kernarg_segment_size: 96
    .language:       OpenCL C
    .language_version:
      - 2
      - 0
    .max_flat_workgroup_size: 160
    .name:           fft_rtc_back_len60_factors_6_10_wgs_160_tpt_10_dp_ip_CI_sbcc
    .private_segment_fixed_size: 0
    .sgpr_count:     44
    .sgpr_spill_count: 0
    .symbol:         fft_rtc_back_len60_factors_6_10_wgs_160_tpt_10_dp_ip_CI_sbcc.kd
    .uniform_work_group_size: 1
    .uses_dynamic_stack: false
    .vgpr_count:     109
    .vgpr_spill_count: 0
    .wavefront_size: 32
    .workgroup_processor_mode: 1
amdhsa.target:   amdgcn-amd-amdhsa--gfx1100
amdhsa.version:
  - 1
  - 2
...

	.end_amdgpu_metadata
